;; amdgpu-corpus repo=ROCm/rocFFT kind=compiled arch=gfx1030 opt=O3
	.text
	.amdgcn_target "amdgcn-amd-amdhsa--gfx1030"
	.amdhsa_code_object_version 6
	.protected	fft_rtc_fwd_len150_factors_10_5_3_wgs_60_tpt_5_halfLds_sp_op_CI_CI_unitstride_sbrr_C2R_dirReg ; -- Begin function fft_rtc_fwd_len150_factors_10_5_3_wgs_60_tpt_5_halfLds_sp_op_CI_CI_unitstride_sbrr_C2R_dirReg
	.globl	fft_rtc_fwd_len150_factors_10_5_3_wgs_60_tpt_5_halfLds_sp_op_CI_CI_unitstride_sbrr_C2R_dirReg
	.p2align	8
	.type	fft_rtc_fwd_len150_factors_10_5_3_wgs_60_tpt_5_halfLds_sp_op_CI_CI_unitstride_sbrr_C2R_dirReg,@function
fft_rtc_fwd_len150_factors_10_5_3_wgs_60_tpt_5_halfLds_sp_op_CI_CI_unitstride_sbrr_C2R_dirReg: ; @fft_rtc_fwd_len150_factors_10_5_3_wgs_60_tpt_5_halfLds_sp_op_CI_CI_unitstride_sbrr_C2R_dirReg
; %bb.0:
	s_load_dwordx4 s[12:15], s[4:5], 0x0
	v_mul_u32_u24_e32 v1, 0x3334, v0
	s_clause 0x1
	s_load_dwordx4 s[8:11], s[4:5], 0x58
	s_load_dwordx4 s[16:19], s[4:5], 0x18
	v_mov_b32_e32 v5, 0
	v_lshrrev_b32_e32 v3, 16, v1
	v_mov_b32_e32 v1, 0
	v_mov_b32_e32 v2, 0
	v_mad_u64_u32 v[3:4], null, s6, 12, v[3:4]
	v_mov_b32_e32 v4, v5
	v_mov_b32_e32 v47, v2
	;; [unrolled: 1-line block ×5, first 2 shown]
	s_waitcnt lgkmcnt(0)
	v_cmp_lt_u64_e64 s0, s[14:15], 2
	s_and_b32 vcc_lo, exec_lo, s0
	s_cbranch_vccnz .LBB0_8
; %bb.1:
	s_load_dwordx2 s[0:1], s[4:5], 0x10
	v_mov_b32_e32 v1, 0
	v_mov_b32_e32 v2, 0
	s_add_u32 s2, s18, 8
	v_mov_b32_e32 v8, v4
	s_addc_u32 s3, s19, 0
	v_mov_b32_e32 v7, v3
	v_mov_b32_e32 v47, v2
	s_add_u32 s6, s16, 8
	v_mov_b32_e32 v46, v1
	s_addc_u32 s7, s17, 0
	s_mov_b64 s[22:23], 1
	s_waitcnt lgkmcnt(0)
	s_add_u32 s20, s0, 8
	s_addc_u32 s21, s1, 0
.LBB0_2:                                ; =>This Inner Loop Header: Depth=1
	s_load_dwordx2 s[24:25], s[20:21], 0x0
                                        ; implicit-def: $vgpr48_vgpr49
	s_mov_b32 s0, exec_lo
	s_waitcnt lgkmcnt(0)
	v_or_b32_e32 v6, s25, v8
	v_cmpx_ne_u64_e32 0, v[5:6]
	s_xor_b32 s1, exec_lo, s0
	s_cbranch_execz .LBB0_4
; %bb.3:                                ;   in Loop: Header=BB0_2 Depth=1
	v_cvt_f32_u32_e32 v4, s24
	v_cvt_f32_u32_e32 v6, s25
	s_sub_u32 s0, 0, s24
	s_subb_u32 s26, 0, s25
	v_fmac_f32_e32 v4, 0x4f800000, v6
	v_rcp_f32_e32 v4, v4
	v_mul_f32_e32 v4, 0x5f7ffffc, v4
	v_mul_f32_e32 v6, 0x2f800000, v4
	v_trunc_f32_e32 v6, v6
	v_fmac_f32_e32 v4, 0xcf800000, v6
	v_cvt_u32_f32_e32 v6, v6
	v_cvt_u32_f32_e32 v4, v4
	v_mul_lo_u32 v9, s0, v6
	v_mul_hi_u32 v10, s0, v4
	v_mul_lo_u32 v11, s26, v4
	v_add_nc_u32_e32 v9, v10, v9
	v_mul_lo_u32 v10, s0, v4
	v_add_nc_u32_e32 v9, v9, v11
	v_mul_hi_u32 v11, v4, v10
	v_mul_lo_u32 v12, v4, v9
	v_mul_hi_u32 v13, v4, v9
	v_mul_hi_u32 v14, v6, v10
	v_mul_lo_u32 v10, v6, v10
	v_mul_hi_u32 v15, v6, v9
	v_mul_lo_u32 v9, v6, v9
	v_add_co_u32 v11, vcc_lo, v11, v12
	v_add_co_ci_u32_e32 v12, vcc_lo, 0, v13, vcc_lo
	v_add_co_u32 v10, vcc_lo, v11, v10
	v_add_co_ci_u32_e32 v10, vcc_lo, v12, v14, vcc_lo
	v_add_co_ci_u32_e32 v11, vcc_lo, 0, v15, vcc_lo
	v_add_co_u32 v9, vcc_lo, v10, v9
	v_add_co_ci_u32_e32 v10, vcc_lo, 0, v11, vcc_lo
	v_add_co_u32 v4, vcc_lo, v4, v9
	v_add_co_ci_u32_e32 v6, vcc_lo, v6, v10, vcc_lo
	v_mul_hi_u32 v9, s0, v4
	v_mul_lo_u32 v11, s26, v4
	v_mul_lo_u32 v10, s0, v6
	v_add_nc_u32_e32 v9, v9, v10
	v_mul_lo_u32 v10, s0, v4
	v_add_nc_u32_e32 v9, v9, v11
	v_mul_hi_u32 v11, v4, v10
	v_mul_lo_u32 v12, v4, v9
	v_mul_hi_u32 v13, v4, v9
	v_mul_hi_u32 v14, v6, v10
	v_mul_lo_u32 v10, v6, v10
	v_mul_hi_u32 v15, v6, v9
	v_mul_lo_u32 v9, v6, v9
	v_add_co_u32 v11, vcc_lo, v11, v12
	v_add_co_ci_u32_e32 v12, vcc_lo, 0, v13, vcc_lo
	v_add_co_u32 v10, vcc_lo, v11, v10
	v_add_co_ci_u32_e32 v10, vcc_lo, v12, v14, vcc_lo
	v_add_co_ci_u32_e32 v11, vcc_lo, 0, v15, vcc_lo
	v_add_co_u32 v9, vcc_lo, v10, v9
	v_add_co_ci_u32_e32 v10, vcc_lo, 0, v11, vcc_lo
	v_add_co_u32 v4, vcc_lo, v4, v9
	v_add_co_ci_u32_e32 v6, vcc_lo, v6, v10, vcc_lo
	v_mul_hi_u32 v15, v7, v4
	v_mad_u64_u32 v[11:12], null, v8, v4, 0
	v_mad_u64_u32 v[9:10], null, v7, v6, 0
	;; [unrolled: 1-line block ×3, first 2 shown]
	v_add_co_u32 v4, vcc_lo, v15, v9
	v_add_co_ci_u32_e32 v6, vcc_lo, 0, v10, vcc_lo
	v_add_co_u32 v4, vcc_lo, v4, v11
	v_add_co_ci_u32_e32 v4, vcc_lo, v6, v12, vcc_lo
	v_add_co_ci_u32_e32 v6, vcc_lo, 0, v14, vcc_lo
	v_add_co_u32 v4, vcc_lo, v4, v13
	v_add_co_ci_u32_e32 v6, vcc_lo, 0, v6, vcc_lo
	v_mul_lo_u32 v11, s25, v4
	v_mad_u64_u32 v[9:10], null, s24, v4, 0
	v_mul_lo_u32 v12, s24, v6
	v_sub_co_u32 v9, vcc_lo, v7, v9
	v_add3_u32 v10, v10, v12, v11
	v_sub_nc_u32_e32 v11, v8, v10
	v_subrev_co_ci_u32_e64 v11, s0, s25, v11, vcc_lo
	v_add_co_u32 v12, s0, v4, 2
	v_add_co_ci_u32_e64 v13, s0, 0, v6, s0
	v_sub_co_u32 v14, s0, v9, s24
	v_sub_co_ci_u32_e32 v10, vcc_lo, v8, v10, vcc_lo
	v_subrev_co_ci_u32_e64 v11, s0, 0, v11, s0
	v_cmp_le_u32_e32 vcc_lo, s24, v14
	v_cmp_eq_u32_e64 s0, s25, v10
	v_cndmask_b32_e64 v14, 0, -1, vcc_lo
	v_cmp_le_u32_e32 vcc_lo, s25, v11
	v_cndmask_b32_e64 v15, 0, -1, vcc_lo
	v_cmp_le_u32_e32 vcc_lo, s24, v9
	;; [unrolled: 2-line block ×3, first 2 shown]
	v_cndmask_b32_e64 v16, 0, -1, vcc_lo
	v_cmp_eq_u32_e32 vcc_lo, s25, v11
	v_cndmask_b32_e64 v9, v16, v9, s0
	v_cndmask_b32_e32 v11, v15, v14, vcc_lo
	v_add_co_u32 v14, vcc_lo, v4, 1
	v_add_co_ci_u32_e32 v15, vcc_lo, 0, v6, vcc_lo
	v_cmp_ne_u32_e32 vcc_lo, 0, v11
	v_cndmask_b32_e32 v10, v15, v13, vcc_lo
	v_cndmask_b32_e32 v11, v14, v12, vcc_lo
	v_cmp_ne_u32_e32 vcc_lo, 0, v9
	v_cndmask_b32_e32 v49, v6, v10, vcc_lo
	v_cndmask_b32_e32 v48, v4, v11, vcc_lo
.LBB0_4:                                ;   in Loop: Header=BB0_2 Depth=1
	s_andn2_saveexec_b32 s0, s1
	s_cbranch_execz .LBB0_6
; %bb.5:                                ;   in Loop: Header=BB0_2 Depth=1
	v_cvt_f32_u32_e32 v4, s24
	s_sub_i32 s1, 0, s24
	v_mov_b32_e32 v49, v5
	v_rcp_iflag_f32_e32 v4, v4
	v_mul_f32_e32 v4, 0x4f7ffffe, v4
	v_cvt_u32_f32_e32 v4, v4
	v_mul_lo_u32 v6, s1, v4
	v_mul_hi_u32 v6, v4, v6
	v_add_nc_u32_e32 v4, v4, v6
	v_mul_hi_u32 v4, v7, v4
	v_mul_lo_u32 v6, v4, s24
	v_add_nc_u32_e32 v9, 1, v4
	v_sub_nc_u32_e32 v6, v7, v6
	v_subrev_nc_u32_e32 v10, s24, v6
	v_cmp_le_u32_e32 vcc_lo, s24, v6
	v_cndmask_b32_e32 v6, v6, v10, vcc_lo
	v_cndmask_b32_e32 v4, v4, v9, vcc_lo
	v_cmp_le_u32_e32 vcc_lo, s24, v6
	v_add_nc_u32_e32 v9, 1, v4
	v_cndmask_b32_e32 v48, v4, v9, vcc_lo
.LBB0_6:                                ;   in Loop: Header=BB0_2 Depth=1
	s_or_b32 exec_lo, exec_lo, s0
	v_mul_lo_u32 v4, v49, s24
	v_mul_lo_u32 v6, v48, s25
	s_load_dwordx2 s[0:1], s[6:7], 0x0
	v_mad_u64_u32 v[9:10], null, v48, s24, 0
	s_load_dwordx2 s[24:25], s[2:3], 0x0
	s_add_u32 s22, s22, 1
	s_addc_u32 s23, s23, 0
	s_add_u32 s2, s2, 8
	s_addc_u32 s3, s3, 0
	s_add_u32 s6, s6, 8
	v_add3_u32 v4, v10, v6, v4
	v_sub_co_u32 v6, vcc_lo, v7, v9
	s_addc_u32 s7, s7, 0
	s_add_u32 s20, s20, 8
	v_sub_co_ci_u32_e32 v4, vcc_lo, v8, v4, vcc_lo
	s_addc_u32 s21, s21, 0
	s_waitcnt lgkmcnt(0)
	v_mul_lo_u32 v7, s0, v4
	v_mul_lo_u32 v8, s1, v6
	v_mad_u64_u32 v[1:2], null, s0, v6, v[1:2]
	v_mul_lo_u32 v4, s24, v4
	v_mul_lo_u32 v9, s25, v6
	v_mad_u64_u32 v[46:47], null, s24, v6, v[46:47]
	v_cmp_ge_u64_e64 s0, s[22:23], s[14:15]
	v_add3_u32 v2, v8, v2, v7
	v_add3_u32 v47, v9, v47, v4
	s_and_b32 vcc_lo, exec_lo, s0
	s_cbranch_vccnz .LBB0_8
; %bb.7:                                ;   in Loop: Header=BB0_2 Depth=1
	v_mov_b32_e32 v7, v48
	v_mov_b32_e32 v8, v49
	s_branch .LBB0_2
.LBB0_8:
	s_load_dwordx2 s[0:1], s[4:5], 0x28
	v_mul_hi_u32 v4, 0xaaaaaaab, v3
	s_lshl_b64 s[4:5], s[14:15], 3
                                        ; implicit-def: $vgpr44
	s_add_u32 s2, s18, s4
	s_addc_u32 s3, s19, s5
	v_lshrrev_b32_e32 v4, 3, v4
	v_mul_lo_u32 v5, v4, 12
	v_mul_hi_u32 v4, 0x33333334, v0
	s_waitcnt lgkmcnt(0)
	v_cmp_gt_u64_e32 vcc_lo, s[0:1], v[48:49]
	v_cmp_le_u64_e64 s0, s[0:1], v[48:49]
	v_sub_nc_u32_e32 v3, v3, v5
	s_and_saveexec_b32 s1, s0
	s_xor_b32 s0, exec_lo, s1
; %bb.9:
	v_mul_u32_u24_e32 v1, 5, v4
                                        ; implicit-def: $vgpr4
	v_sub_nc_u32_e32 v44, v0, v1
                                        ; implicit-def: $vgpr0
                                        ; implicit-def: $vgpr1_vgpr2
; %bb.10:
	s_or_saveexec_b32 s1, s0
	s_load_dwordx2 s[2:3], s[2:3], 0x0
	v_mul_u32_u24_e32 v3, 0x97, v3
	v_lshlrev_b32_e32 v54, 3, v3
	s_xor_b32 exec_lo, exec_lo, s1
	s_cbranch_execz .LBB0_14
; %bb.11:
	s_add_u32 s4, s16, s4
	s_addc_u32 s5, s17, s5
	v_lshlrev_b64 v[1:2], 3, v[1:2]
	s_load_dwordx2 s[4:5], s[4:5], 0x0
	s_waitcnt lgkmcnt(0)
	v_mul_lo_u32 v7, s5, v48
	v_mul_lo_u32 v8, s4, v49
	v_mad_u64_u32 v[5:6], null, s4, v48, 0
	s_mov_b32 s4, exec_lo
	v_add3_u32 v6, v6, v8, v7
	v_mul_u32_u24_e32 v7, 5, v4
	v_lshlrev_b64 v[4:5], 3, v[5:6]
	v_sub_nc_u32_e32 v44, v0, v7
	v_lshlrev_b32_e32 v45, 3, v44
	v_add_co_u32 v0, s0, s8, v4
	v_add_co_ci_u32_e64 v4, s0, s9, v5, s0
	v_add_co_u32 v0, s0, v0, v1
	v_add_co_ci_u32_e64 v1, s0, v4, v2, s0
	v_add3_u32 v2, 0, v54, v45
	v_add_co_u32 v4, s0, v0, v45
	v_add_co_ci_u32_e64 v5, s0, 0, v1, s0
	s_clause 0x1d
	global_load_dwordx2 v[6:7], v[4:5], off
	global_load_dwordx2 v[8:9], v[4:5], off offset:40
	global_load_dwordx2 v[10:11], v[4:5], off offset:80
	;; [unrolled: 1-line block ×29, first 2 shown]
	s_waitcnt vmcnt(28)
	ds_write2_b64 v2, v[6:7], v[8:9] offset1:5
	s_waitcnt vmcnt(26)
	ds_write2_b64 v2, v[10:11], v[12:13] offset0:10 offset1:15
	s_waitcnt vmcnt(24)
	ds_write2_b64 v2, v[14:15], v[16:17] offset0:20 offset1:25
	;; [unrolled: 2-line block ×14, first 2 shown]
	v_cmpx_eq_u32_e32 4, v44
	s_cbranch_execz .LBB0_13
; %bb.12:
	global_load_dwordx2 v[0:1], v[0:1], off offset:1200
	v_mov_b32_e32 v44, 4
	s_waitcnt vmcnt(0)
	ds_write_b64 v2, v[0:1] offset:1168
.LBB0_13:
	s_or_b32 exec_lo, exec_lo, s4
.LBB0_14:
	s_or_b32 exec_lo, exec_lo, s1
	v_lshl_add_u32 v52, v3, 3, 0
	v_lshlrev_b32_e32 v7, 3, v44
	s_waitcnt lgkmcnt(0)
	s_barrier
	buffer_gl0_inv
	s_mov_b32 s1, exec_lo
	v_add_nc_u32_e32 v53, v52, v7
	v_sub_nc_u32_e32 v6, v52, v7
                                        ; implicit-def: $vgpr2_vgpr3
	ds_read_b32 v4, v53
	ds_read_b32 v5, v6 offset:1200
	s_waitcnt lgkmcnt(0)
	v_add_f32_e32 v0, v5, v4
	v_sub_f32_e32 v1, v4, v5
	v_cmpx_ne_u32_e32 0, v44
	s_xor_b32 s1, exec_lo, s1
	s_cbranch_execz .LBB0_16
; %bb.15:
	v_mov_b32_e32 v45, 0
	v_add_f32_e32 v8, v5, v4
	v_sub_f32_e32 v9, v4, v5
	v_lshlrev_b64 v[0:1], 3, v[44:45]
	v_add_co_u32 v0, s0, s12, v0
	v_add_co_ci_u32_e64 v1, s0, s13, v1, s0
	global_load_dwordx2 v[2:3], v[0:1], off offset:1120
	ds_read_b32 v0, v6 offset:1204
	ds_read_b32 v1, v53 offset:4
	s_waitcnt lgkmcnt(0)
	v_add_f32_e32 v10, v0, v1
	v_sub_f32_e32 v0, v1, v0
	s_waitcnt vmcnt(0)
	v_fma_f32 v4, -v9, v3, v8
	v_fma_f32 v5, v10, v3, -v0
	v_fma_f32 v11, v9, v3, v8
	v_fma_f32 v1, v10, v3, v0
	v_fmac_f32_e32 v4, v2, v10
	v_fmac_f32_e32 v5, v9, v2
	v_fma_f32 v0, -v2, v10, v11
	v_fmac_f32_e32 v1, v9, v2
	v_mov_b32_e32 v2, v44
	v_mov_b32_e32 v3, v45
	ds_write_b64 v6, v[4:5] offset:1200
.LBB0_16:
	s_andn2_saveexec_b32 s0, s1
	s_cbranch_execz .LBB0_18
; %bb.17:
	ds_read_b64 v[2:3], v52 offset:600
	s_waitcnt lgkmcnt(0)
	v_add_f32_e32 v4, v2, v2
	v_mul_f32_e32 v5, -2.0, v3
	v_mov_b32_e32 v2, 0
	v_mov_b32_e32 v3, 0
	ds_write_b64 v52, v[4:5] offset:600
.LBB0_18:
	s_or_b32 exec_lo, exec_lo, s0
	v_lshlrev_b64 v[2:3], 3, v[2:3]
	s_add_u32 s0, s12, 0x460
	s_addc_u32 s1, s13, 0
	v_add_nc_u32_e32 v57, 20, v44
	v_add_nc_u32_e32 v56, 25, v44
	v_add3_u32 v45, 0, v7, v54
	v_add_co_u32 v2, s0, s0, v2
	v_add_co_ci_u32_e64 v3, s0, s1, v3, s0
	v_lshlrev_b32_e32 v50, 2, v44
	v_mov_b32_e32 v51, 0
	v_add_nc_u32_e32 v55, 5, v44
	s_clause 0x6
	global_load_dwordx2 v[4:5], v[2:3], off offset:40
	global_load_dwordx2 v[8:9], v[2:3], off offset:80
	;; [unrolled: 1-line block ×7, first 2 shown]
	ds_write_b64 v53, v[0:1]
	ds_read_b64 v[0:1], v53 offset:40
	ds_read_b64 v[20:21], v6 offset:1160
	global_load_dwordx2 v[22:23], v[2:3], off offset:320
	v_mul_u32_u24_e32 v7, 10, v44
	v_lshlrev_b32_e32 v7, 3, v7
	s_waitcnt lgkmcnt(0)
	v_add_f32_e32 v24, v0, v20
	v_add_f32_e32 v25, v21, v1
	v_sub_f32_e32 v26, v0, v20
	v_sub_f32_e32 v0, v1, v21
	s_waitcnt vmcnt(7)
	v_fma_f32 v27, v26, v5, v24
	v_fma_f32 v1, v25, v5, v0
	v_fma_f32 v20, -v26, v5, v24
	v_fma_f32 v21, v25, v5, -v0
	v_fma_f32 v0, -v4, v25, v27
	v_fmac_f32_e32 v1, v26, v4
	v_fmac_f32_e32 v20, v4, v25
	v_fmac_f32_e32 v21, v26, v4
	ds_write_b64 v53, v[0:1] offset:40
	ds_write_b64 v6, v[20:21] offset:1160
	ds_read_b64 v[0:1], v53 offset:80
	ds_read_b64 v[4:5], v6 offset:1120
	global_load_dwordx2 v[20:21], v[2:3], off offset:360
	s_waitcnt lgkmcnt(0)
	v_add_f32_e32 v24, v0, v4
	v_add_f32_e32 v25, v5, v1
	v_sub_f32_e32 v26, v0, v4
	v_sub_f32_e32 v0, v1, v5
	s_waitcnt vmcnt(7)
	v_fma_f32 v27, v26, v9, v24
	v_fma_f32 v1, v25, v9, v0
	v_fma_f32 v4, -v26, v9, v24
	v_fma_f32 v5, v25, v9, -v0
	v_fma_f32 v0, -v8, v25, v27
	v_fmac_f32_e32 v1, v26, v8
	v_fmac_f32_e32 v4, v8, v25
	v_fmac_f32_e32 v5, v26, v8
	ds_write_b64 v53, v[0:1] offset:80
	ds_write_b64 v6, v[4:5] offset:1120
	ds_read_b64 v[0:1], v53 offset:120
	ds_read_b64 v[4:5], v6 offset:1080
	global_load_dwordx2 v[8:9], v[2:3], off offset:400
	;; [unrolled: 19-line block ×6, first 2 shown]
	s_waitcnt lgkmcnt(0)
	v_add_f32_e32 v2, v4, v16
	v_add_f32_e32 v24, v17, v5
	v_sub_f32_e32 v16, v4, v16
	v_sub_f32_e32 v5, v5, v17
	s_waitcnt vmcnt(7)
	v_fma_f32 v17, v16, v19, v2
	v_fma_f32 v3, v24, v19, v5
	v_fma_f32 v4, -v16, v19, v2
	v_fma_f32 v5, v24, v19, -v5
	v_fma_f32 v2, -v18, v24, v17
	v_fmac_f32_e32 v3, v16, v18
	v_fmac_f32_e32 v4, v18, v24
	v_fmac_f32_e32 v5, v16, v18
	ds_write_b64 v53, v[2:3] offset:280
	ds_write_b64 v6, v[4:5] offset:920
	ds_read_b64 v[2:3], v53 offset:320
	ds_read_b64 v[4:5], v6 offset:880
	s_waitcnt lgkmcnt(0)
	v_add_f32_e32 v16, v2, v4
	v_add_f32_e32 v17, v5, v3
	v_sub_f32_e32 v18, v2, v4
	v_sub_f32_e32 v2, v3, v5
	s_waitcnt vmcnt(6)
	v_fma_f32 v19, v18, v23, v16
	v_fma_f32 v3, v17, v23, v2
	v_fma_f32 v4, -v18, v23, v16
	v_fma_f32 v5, v17, v23, -v2
	v_fma_f32 v2, -v22, v17, v19
	v_fmac_f32_e32 v3, v18, v22
	v_fmac_f32_e32 v4, v22, v17
	v_fmac_f32_e32 v5, v18, v22
	ds_write_b64 v53, v[2:3] offset:320
	ds_write_b64 v6, v[4:5] offset:880
	ds_read_b64 v[2:3], v53 offset:360
	ds_read_b64 v[4:5], v6 offset:840
	;; [unrolled: 18-line block ×6, first 2 shown]
	v_lshlrev_b64 v[12:13], 3, v[50:51]
	v_lshlrev_b32_e32 v50, 2, v55
	v_lshlrev_b64 v[16:17], 3, v[50:51]
	v_add_co_u32 v16, s0, s12, v16
	v_add_co_ci_u32_e64 v17, s0, s13, v17, s0
	v_add_co_u32 v12, s0, s12, v12
	v_add_co_ci_u32_e64 v13, s0, s13, v13, s0
	s_waitcnt lgkmcnt(0)
	v_add_f32_e32 v8, v2, v4
	v_add_f32_e32 v9, v5, v3
	v_sub_f32_e32 v10, v2, v4
	v_sub_f32_e32 v2, v3, v5
	s_waitcnt vmcnt(1)
	v_fma_f32 v11, v10, v15, v8
	v_fma_f32 v3, v9, v15, v2
	v_fma_f32 v4, -v10, v15, v8
	v_fma_f32 v5, v9, v15, -v2
	v_and_b32_e32 v8, 0xff, v57
	v_fma_f32 v2, -v14, v9, v11
	v_fmac_f32_e32 v3, v10, v14
	v_fmac_f32_e32 v4, v14, v9
	;; [unrolled: 1-line block ×3, first 2 shown]
	ds_write_b64 v53, v[2:3] offset:520
	ds_write_b64 v6, v[4:5] offset:680
	ds_read_b64 v[2:3], v53 offset:560
	ds_read_b64 v[4:5], v6 offset:640
	v_and_b32_e32 v9, 0xff, v56
	v_mul_lo_u16 v8, 0xcd, v8
	v_mov_b32_e32 v14, 5
	v_lshrrev_b16 v8, 11, v8
	v_mul_lo_u16 v8, v8, 10
	v_sub_nc_u16 v50, v57, v8
	s_waitcnt lgkmcnt(0)
	v_add_f32_e32 v10, v2, v4
	v_add_f32_e32 v11, v5, v3
	v_sub_f32_e32 v15, v2, v4
	v_sub_f32_e32 v4, v3, v5
	v_mul_lo_u16 v5, 0xcd, v9
	v_lshlrev_b32_sdwa v20, v14, v50 dst_sel:DWORD dst_unused:UNUSED_PAD src0_sel:DWORD src1_sel:BYTE_0
	s_waitcnt vmcnt(0)
	v_fma_f32 v9, v15, v1, v10
	v_fma_f32 v2, v11, v1, v4
	v_fma_f32 v3, -v15, v1, v10
	v_fma_f32 v4, v11, v1, -v4
	v_lshrrev_b16 v18, 11, v5
	v_fma_f32 v1, -v0, v11, v9
	v_fmac_f32_e32 v2, v15, v0
	v_fmac_f32_e32 v3, v0, v11
	;; [unrolled: 1-line block ×3, first 2 shown]
	v_add3_u32 v15, 0, v7, v54
	ds_write_b64 v53, v[1:2] offset:560
	ds_write_b64 v6, v[3:4] offset:640
	s_waitcnt lgkmcnt(0)
	s_barrier
	buffer_gl0_inv
	s_barrier
	buffer_gl0_inv
	ds_read2_b64 v[0:3], v45 offset0:15 offset1:20
	ds_read2_b64 v[4:7], v45 offset0:45 offset1:50
	;; [unrolled: 1-line block ×5, first 2 shown]
	v_mul_lo_u16 v43, v18, 10
	ds_read2_b64 v[29:32], v45 offset0:5 offset1:10
	ds_read2_b64 v[33:36], v45 offset0:35 offset1:40
	;; [unrolled: 1-line block ×9, first 2 shown]
	ds_read_b64 v[18:19], v53
	ds_read_b64 v[41:42], v45 offset:1160
	s_waitcnt lgkmcnt(0)
	s_barrier
	buffer_gl0_inv
	v_add_f32_e32 v108, v30, v34
	v_add_f32_e32 v110, v32, v36
	v_add_f32_e32 v107, v29, v33
	v_sub_f32_e32 v112, v38, v59
	v_add_f32_e32 v90, v1, v5
	v_add_f32_e32 v100, v3, v7
	v_sub_f32_e32 v85, v9, v22
	v_sub_f32_e32 v84, v5, v26
	v_add_f32_e32 v131, v18, v68
	v_sub_f32_e32 v89, v8, v4
	v_add_f32_e32 v91, v9, v22
	;; [unrolled: 2-line block ×3, first 2 shown]
	v_sub_f32_e32 v5, v9, v5
	v_sub_f32_e32 v97, v11, v24
	v_add_f32_e32 v101, v11, v24
	v_sub_f32_e32 v103, v7, v11
	v_sub_f32_e32 v104, v11, v7
	v_add_f32_e32 v136, v72, v76
	v_sub_f32_e32 v139, v72, v76
	v_add_f32_e32 v9, v90, v9
	v_add_f32_e32 v11, v100, v11
	v_sub_f32_e32 v90, v68, v72
	v_sub_f32_e32 v100, v72, v68
	v_add_f32_e32 v72, v131, v72
	v_sub_f32_e32 v131, v21, v25
	v_add_f32_e32 v82, v0, v4
	;; [unrolled: 2-line block ×3, first 2 shown]
	v_add_f32_e32 v95, v2, v6
	v_add_f32_e32 v89, v89, v131
	v_sub_f32_e32 v131, v24, v28
	v_add_f32_e32 v83, v8, v21
	v_sub_f32_e32 v86, v4, v8
	v_sub_f32_e32 v92, v8, v21
	v_add_f32_e32 v115, v38, v59
	v_sub_f32_e32 v117, v34, v38
	v_sub_f32_e32 v118, v38, v34
	v_add_f32_e32 v132, v19, v69
	v_add_f32_e32 v134, v67, v71
	v_sub_f32_e32 v135, v80, v76
	v_sub_f32_e32 v142, v71, v75
	v_add_f32_e32 v8, v82, v8
	v_sub_f32_e32 v82, v75, v71
	v_add_f32_e32 v38, v108, v38
	;; [unrolled: 2-line block ×3, first 2 shown]
	v_fma_f32 v101, -0.5, v101, v3
	v_fmac_f32_e32 v3, -0.5, v7
	v_add_f32_e32 v7, v75, v79
	v_add_f32_e32 v104, v104, v131
	v_sub_f32_e32 v131, v79, v42
	v_add_f32_e32 v96, v10, v23
	v_sub_f32_e32 v98, v6, v10
	v_sub_f32_e32 v99, v10, v6
	;; [unrolled: 1-line block ×6, first 2 shown]
	v_add_f32_e32 v129, v40, v61
	v_add_f32_e32 v10, v95, v10
	v_sub_f32_e32 v95, v69, v73
	v_add_f32_e32 v40, v110, v40
	v_sub_f32_e32 v110, v81, v77
	;; [unrolled: 2-line block ×3, first 2 shown]
	v_sub_f32_e32 v114, v37, v33
	v_sub_f32_e32 v116, v37, v58
	v_add_f32_e32 v137, v73, v77
	v_sub_f32_e32 v138, v73, v77
	v_add_f32_e32 v37, v107, v37
	;; [unrolled: 2-line block ×4, first 2 shown]
	v_sub_f32_e32 v135, v22, v26
	v_fma_f32 v143, -0.5, v7, v67
	v_fmac_f32_e32 v67, -0.5, v71
	v_sub_f32_e32 v7, v63, v59
	v_add_f32_e32 v71, v82, v131
	v_sub_f32_e32 v82, v59, v63
	v_sub_f32_e32 v87, v25, v21
	v_add_f32_e32 v95, v95, v110
	v_sub_f32_e32 v110, v76, v80
	v_sub_f32_e32 v126, v36, v65
	v_add_f32_e32 v36, v36, v65
	v_add_f32_e32 v93, v93, v132
	v_sub_f32_e32 v132, v77, v81
	v_add_f32_e32 v135, v5, v135
	v_sub_f32_e32 v5, v62, v58
	;; [unrolled: 2-line block ×4, first 2 shown]
	v_add_f32_e32 v109, v31, v35
	v_add_f32_e32 v86, v86, v87
	;; [unrolled: 1-line block ×4, first 2 shown]
	v_sub_f32_e32 v110, v27, v23
	v_add_f32_e32 v88, v4, v25
	v_add_f32_e32 v106, v6, v27
	v_sub_f32_e32 v120, v35, v39
	v_sub_f32_e32 v121, v39, v35
	v_add_f32_e32 v125, v33, v62
	v_add_f32_e32 v133, v66, v70
	v_sub_f32_e32 v140, v70, v74
	v_add_f32_e32 v107, v107, v132
	v_sub_f32_e32 v132, v28, v24
	v_add_f32_e32 v113, v113, v5
	v_sub_f32_e32 v5, v64, v60
	v_sub_f32_e32 v131, v60, v64
	v_add_f32_e32 v122, v122, v7
	v_sub_f32_e32 v7, v41, v78
	v_fma_f32 v129, -0.5, v129, v32
	v_fmac_f32_e32 v32, -0.5, v36
	v_add_f32_e32 v36, v68, v80
	v_add_f32_e32 v118, v123, v118
	v_sub_f32_e32 v123, v42, v79
	v_add_f32_e32 v119, v39, v60
	v_sub_f32_e32 v124, v34, v63
	;; [unrolled: 2-line block ×3, first 2 shown]
	v_add_f32_e32 v39, v109, v39
	v_add_f32_e32 v109, v70, v41
	v_fma_f32 v137, -0.5, v137, v19
	v_fmac_f32_e32 v19, -0.5, v87
	v_sub_f32_e32 v87, v23, v27
	v_add_f32_e32 v98, v98, v110
	v_add_f32_e32 v110, v74, v78
	v_fma_f32 v83, -0.5, v83, v0
	v_sub_f32_e32 v141, v74, v70
	v_add_f32_e32 v103, v103, v132
	v_sub_f32_e32 v132, v75, v79
	v_add_f32_e32 v120, v120, v5
	v_sub_f32_e32 v5, v74, v78
	v_add_f32_e32 v121, v121, v131
	v_add_f32_e32 v131, v140, v7
	v_sub_f32_e32 v7, v68, v80
	v_add_f32_e32 v68, v133, v74
	v_add_f32_e32 v74, v134, v75
	;; [unrolled: 1-line block ×3, first 2 shown]
	v_fma_f32 v36, -0.5, v36, v18
	v_fma_f32 v123, -0.5, v136, v18
	;; [unrolled: 1-line block ×8, first 2 shown]
	v_add_f32_e32 v0, v8, v21
	v_add_f32_e32 v8, v10, v23
	v_sub_f32_e32 v4, v4, v25
	v_fma_f32 v91, -0.5, v91, v1
	v_sub_f32_e32 v6, v6, v27
	v_sub_f32_e32 v70, v70, v41
	v_add_f32_e32 v87, v99, v87
	v_sub_f32_e32 v99, v78, v41
	v_fma_f32 v115, -0.5, v115, v30
	v_fma_f32 v125, -0.5, v34, v30
	;; [unrolled: 1-line block ×4, first 2 shown]
	v_add_f32_e32 v1, v9, v22
	v_add_f32_e32 v9, v11, v24
	;; [unrolled: 1-line block ×6, first 2 shown]
	v_fmamk_f32 v61, v84, 0x3f737871, v83
	v_fmamk_f32 v60, v85, 0xbf737871, v18
	v_fmac_f32_e32 v18, 0x3f737871, v85
	v_fmamk_f32 v66, v92, 0x3f737871, v88
	v_fmac_f32_e32 v88, 0xbf737871, v92
	v_add_f32_e32 v8, v8, v27
	v_fmamk_f32 v27, v97, 0xbf737871, v2
	v_fmac_f32_e32 v2, 0x3f737871, v97
	v_add_f32_e32 v37, v68, v78
	v_fmac_f32_e32 v83, 0xbf737871, v84
	v_fmamk_f32 v68, v4, 0xbf737871, v91
	v_fmac_f32_e32 v91, 0x3f737871, v4
	v_fmamk_f32 v78, v102, 0x3f737871, v3
	v_sub_f32_e32 v33, v33, v62
	v_add_f32_e32 v127, v35, v64
	v_sub_f32_e32 v35, v35, v64
	v_add_f32_e32 v99, v141, v99
	v_sub_f32_e32 v141, v58, v62
	v_sub_f32_e32 v69, v69, v81
	v_add_f32_e32 v24, v73, v77
	v_fmamk_f32 v77, v105, 0x3f737871, v29
	v_fmac_f32_e32 v29, 0xbf737871, v105
	v_add_f32_e32 v9, v9, v28
	v_fmamk_f32 v28, v6, 0xbf737871, v101
	v_fmac_f32_e32 v101, 0x3f737871, v6
	v_fmac_f32_e32 v3, 0xbf737871, v102
	v_add_f32_e32 v10, v10, v62
	v_add_f32_e32 v11, v11, v63
	;; [unrolled: 1-line block ×4, first 2 shown]
	v_fmamk_f32 v62, v108, 0x3f737871, v30
	v_fmac_f32_e32 v30, 0xbf737871, v108
	v_fmamk_f32 v63, v132, 0xbf737871, v34
	v_fmac_f32_e32 v34, 0x3f737871, v132
	;; [unrolled: 2-line block ×4, first 2 shown]
	v_fmac_f32_e32 v61, 0x3f167918, v85
	v_add_f32_e32 v23, v72, v76
	v_add_f32_e32 v38, v74, v79
	v_fmac_f32_e32 v60, 0x3f167918, v84
	v_fmac_f32_e32 v18, 0xbf167918, v84
	;; [unrolled: 1-line block ×8, first 2 shown]
	v_fma_f32 v96, -0.5, v119, v31
	v_fma_f32 v31, -0.5, v127, v31
	v_fmamk_f32 v40, v69, 0x3f737871, v123
	v_fmamk_f32 v59, v7, 0xbf737871, v137
	;; [unrolled: 1-line block ×3, first 2 shown]
	v_fmac_f32_e32 v125, 0xbf737871, v116
	v_fmamk_f32 v110, v130, 0x3f737871, v32
	v_fmac_f32_e32 v32, 0xbf737871, v130
	v_fmac_f32_e32 v68, 0xbf167918, v92
	v_fmac_f32_e32 v77, 0x3f167918, v97
	v_fmac_f32_e32 v29, 0xbf167918, v97
	v_fmac_f32_e32 v27, 0x3f167918, v105
	v_fmac_f32_e32 v101, 0x3f167918, v102
	v_fmac_f32_e32 v3, 0x3f167918, v6
	v_fmac_f32_e32 v62, 0x3f167918, v132
	v_fmac_f32_e32 v30, 0xbf167918, v132
	v_fmac_f32_e32 v34, 0xbf167918, v108
	v_fmac_f32_e32 v63, 0x3f167918, v108
	v_fmac_f32_e32 v143, 0x3f167918, v5
	v_fmac_f32_e32 v67, 0x3f167918, v70
	v_fmac_f32_e32 v65, 0xbf167918, v70
	v_fmac_f32_e32 v61, 0x3e9e377a, v86
	v_fmamk_f32 v39, v138, 0xbf737871, v36
	v_fmac_f32_e32 v36, 0x3f737871, v138
	v_fmamk_f32 v58, v139, 0x3f737871, v19
	v_fmac_f32_e32 v19, 0xbf737871, v139
	v_add_f32_e32 v25, v0, v25
	v_add_f32_e32 v26, v1, v26
	;; [unrolled: 1-line block ×6, first 2 shown]
	v_fmac_f32_e32 v60, 0x3e9e377a, v89
	v_fmac_f32_e32 v18, 0x3e9e377a, v89
	;; [unrolled: 1-line block ×9, first 2 shown]
	v_fmamk_f32 v73, v112, 0xbf737871, v111
	v_fmac_f32_e32 v78, 0x3e9e377a, v104
	v_fmamk_f32 v72, v124, 0x3f737871, v94
	v_fmac_f32_e32 v94, 0xbf737871, v124
	v_fmac_f32_e32 v111, 0x3f737871, v112
	v_fmamk_f32 v74, v33, 0xbf737871, v115
	v_fmac_f32_e32 v115, 0x3f737871, v33
	v_fmamk_f32 v79, v126, 0x3f737871, v96
	;; [unrolled: 2-line block ×4, first 2 shown]
	v_fmac_f32_e32 v129, 0x3f737871, v35
	v_fmac_f32_e32 v40, 0x3f167918, v138
	;; [unrolled: 1-line block ×22, first 2 shown]
	v_mul_f32_e32 v33, 0x3f4f1bbd, v61
	v_mul_f32_e32 v35, 0xbf167918, v61
	v_fmac_f32_e32 v39, 0x3f167918, v69
	v_fmac_f32_e32 v36, 0xbf167918, v69
	;; [unrolled: 1-line block ×4, first 2 shown]
	v_add_f32_e32 v0, v23, v25
	v_add_f32_e32 v1, v24, v26
	v_sub_f32_e32 v4, v23, v25
	v_sub_f32_e32 v5, v24, v26
	v_add_f32_e32 v6, v10, v8
	v_add_f32_e32 v7, v11, v9
	v_sub_f32_e32 v8, v10, v8
	v_sub_f32_e32 v9, v11, v9
	;; [unrolled: 4-line block ×3, first 2 shown]
	v_mul_f32_e32 v37, 0x3f737871, v66
	v_mul_f32_e32 v38, 0xbf737871, v60
	;; [unrolled: 1-line block ×5, first 2 shown]
	v_fmac_f32_e32 v123, 0xbf167918, v138
	v_fmac_f32_e32 v137, 0x3f167918, v139
	v_mul_f32_e32 v25, 0x3f4f1bbd, v83
	v_mul_f32_e32 v26, 0x3f4f1bbd, v91
	v_add_f32_e32 v114, v114, v141
	v_fmac_f32_e32 v73, 0x3f167918, v124
	v_mul_f32_e32 v70, 0x3f737871, v78
	v_fmac_f32_e32 v72, 0x3f167918, v112
	v_fmac_f32_e32 v94, 0xbf167918, v112
	;; [unrolled: 1-line block ×17, first 2 shown]
	v_mul_f32_e32 v42, 0x3e9e377a, v3
	v_mul_f32_e32 v61, 0x3e9e377a, v34
	;; [unrolled: 1-line block ×14, first 2 shown]
	v_fmac_f32_e32 v33, 0x3f167918, v68
	v_fmac_f32_e32 v35, 0x3f4f1bbd, v68
	;; [unrolled: 1-line block ×6, first 2 shown]
	v_fma_f32 v89, 0x3f737871, v3, -v41
	v_fmac_f32_e32 v37, 0x3e9e377a, v60
	v_fmac_f32_e32 v38, 0x3e9e377a, v66
	v_fma_f32 v41, 0x3f737871, v88, -v23
	v_fma_f32 v18, 0xbf737871, v18, -v24
	v_fmac_f32_e32 v123, 0x3e9e377a, v90
	v_fmac_f32_e32 v137, 0x3e9e377a, v95
	v_fma_f32 v60, 0x3f167918, v91, -v25
	v_fma_f32 v66, 0xbf167918, v83, -v26
	v_fmac_f32_e32 v73, 0x3e9e377a, v114
	v_fmac_f32_e32 v70, 0x3e9e377a, v27
	v_fmac_f32_e32 v72, 0x3e9e377a, v113
	v_fmac_f32_e32 v94, 0x3e9e377a, v113
	v_fmac_f32_e32 v111, 0x3e9e377a, v114
	v_fmac_f32_e32 v74, 0x3e9e377a, v117
	v_fmac_f32_e32 v115, 0x3e9e377a, v117
	v_fmac_f32_e32 v79, 0x3e9e377a, v120
	v_fmac_f32_e32 v96, 0x3e9e377a, v120
	v_fmac_f32_e32 v106, 0x3e9e377a, v121
	v_fmac_f32_e32 v31, 0x3e9e377a, v121
	v_fmac_f32_e32 v109, 0x3e9e377a, v122
	v_fmac_f32_e32 v129, 0x3e9e377a, v122
	v_fmac_f32_e32 v110, 0x3e9e377a, v118
	v_fmac_f32_e32 v32, 0x3e9e377a, v118
	v_fma_f32 v83, 0x3f737871, v67, -v61
	v_fma_f32 v61, 0xbf737871, v34, -v69
	v_fmac_f32_e32 v71, 0x3f167918, v28
	v_fmac_f32_e32 v75, 0x3f4f1bbd, v28
	v_fma_f32 v68, 0x3f167918, v101, -v77
	v_fmac_f32_e32 v80, 0x3e9e377a, v78
	v_fma_f32 v67, 0xbf737871, v2, -v42
	v_fma_f32 v69, 0xbf167918, v29, -v81
	v_fmac_f32_e32 v82, 0x3f167918, v64
	v_fmac_f32_e32 v84, 0x3f4f1bbd, v64
	;; [unrolled: 1-line block ×3, first 2 shown]
	v_fma_f32 v81, 0x3f167918, v143, -v62
	v_fmac_f32_e32 v86, 0x3e9e377a, v65
	v_fma_f32 v87, 0xbf167918, v30, -v87
	v_add_f32_e32 v2, v40, v33
	v_add_f32_e32 v3, v59, v35
	;; [unrolled: 1-line block ×8, first 2 shown]
	v_sub_f32_e32 v29, v40, v33
	v_sub_f32_e32 v30, v59, v35
	;; [unrolled: 1-line block ×8, first 2 shown]
	v_add_f32_e32 v58, v73, v70
	v_add_f32_e32 v38, v32, v61
	v_sub_f32_e32 v32, v32, v61
	v_add_f32_e32 v39, v72, v71
	v_add_f32_e32 v40, v74, v75
	v_sub_f32_e32 v41, v72, v71
	v_sub_f32_e32 v42, v74, v75
	v_add_f32_e32 v59, v76, v80
	v_sub_f32_e32 v60, v73, v70
	v_sub_f32_e32 v61, v76, v80
	v_add_f32_e32 v62, v111, v89
	v_add_f32_e32 v63, v125, v67
	v_sub_f32_e32 v64, v111, v89
	v_sub_f32_e32 v65, v125, v67
	v_add_f32_e32 v66, v94, v68
	;; [unrolled: 4-line block ×3, first 2 shown]
	v_sub_f32_e32 v31, v31, v83
	v_add_f32_e32 v70, v79, v82
	v_add_f32_e32 v71, v109, v84
	v_sub_f32_e32 v72, v79, v82
	v_sub_f32_e32 v73, v109, v84
	v_add_f32_e32 v74, v106, v85
	v_add_f32_e32 v75, v110, v86
	v_sub_f32_e32 v76, v106, v85
	;; [unrolled: 4-line block ×3, first 2 shown]
	v_sub_f32_e32 v81, v129, v87
	ds_write2_b64 v15, v[0:1], v[2:3] offset1:1
	ds_write2_b64 v15, v[23:24], v[25:26] offset0:2 offset1:3
	ds_write2_b64 v15, v[27:28], v[4:5] offset0:4 offset1:5
	ds_write2_b64 v15, v[29:30], v[33:34] offset0:6 offset1:7
	ds_write2_b64 v15, v[18:19], v[35:36] offset0:8 offset1:9
	ds_write2_b64 v15, v[6:7], v[39:40] offset0:50 offset1:51
	ds_write2_b64 v15, v[58:59], v[62:63] offset0:52 offset1:53
	ds_write2_b64 v15, v[66:67], v[8:9] offset0:54 offset1:55
	ds_write2_b64 v15, v[41:42], v[60:61] offset0:56 offset1:57
	ds_write2_b64 v15, v[64:65], v[68:69] offset0:58 offset1:59
	ds_write2_b64 v15, v[10:11], v[70:71] offset0:100 offset1:101
	ds_write2_b64 v15, v[74:75], v[37:38] offset0:102 offset1:103
	ds_write2_b64 v15, v[78:79], v[21:22] offset0:104 offset1:105
	ds_write2_b64 v15, v[72:73], v[76:77] offset0:106 offset1:107
	ds_write2_b64 v15, v[31:32], v[80:81] offset0:108 offset1:109
	v_sub_nc_u16 v58, v56, v43
	s_waitcnt lgkmcnt(0)
	s_barrier
	buffer_gl0_inv
	s_clause 0x1
	global_load_dwordx4 v[4:7], v[16:17], off offset:16
	global_load_dwordx4 v[8:11], v20, s[12:13] offset:16
	v_lshlrev_b32_sdwa v18, v14, v58 dst_sel:DWORD dst_unused:UNUSED_PAD src0_sel:DWORD src1_sel:BYTE_0
	s_clause 0x5
	global_load_dwordx4 v[0:3], v[12:13], off offset:16
	global_load_dwordx4 v[28:31], v18, s[12:13] offset:16
	global_load_dwordx4 v[12:15], v[12:13], off
	global_load_dwordx4 v[24:27], v18, s[12:13]
	global_load_dwordx4 v[16:19], v[16:17], off
	global_load_dwordx4 v[20:23], v20, s[12:13]
	ds_read2_b64 v[32:35], v45 offset0:105 offset1:110
	ds_read2_b64 v[59:62], v45 offset0:135 offset1:140
	;; [unrolled: 1-line block ×12, first 2 shown]
	ds_read_b64 v[103:104], v45 offset:1160
	ds_read_b64 v[105:106], v53
	ds_read2_b64 v[99:102], v45 offset0:5 offset1:10
	ds_read2_b64 v[40:43], v45 offset0:15 offset1:20
	v_mov_b32_e32 v107, 3
	s_waitcnt vmcnt(0) lgkmcnt(0)
	s_barrier
	buffer_gl0_inv
	v_mul_f32_e32 v108, v33, v5
	v_mul_f32_e32 v110, v35, v9
	;; [unrolled: 1-line block ×19, first 2 shown]
	v_fma_f32 v32, v32, v4, -v108
	v_fmac_f32_e32 v111, v35, v8
	v_mul_f32_e32 v35, v92, v17
	v_fma_f32 v108, v61, v10, -v9
	v_mul_f32_e32 v9, v91, v17
	v_fmac_f32_e32 v113, v60, v6
	v_mul_f32_e32 v60, v39, v13
	v_mul_f32_e32 v118, v78, v3
	;; [unrolled: 1-line block ×14, first 2 shown]
	v_fmac_f32_e32 v109, v33, v4
	v_fma_f32 v33, v34, v8, -v110
	v_mul_f32_e32 v8, v89, v23
	v_mul_f32_e32 v23, v88, v19
	;; [unrolled: 1-line block ×3, first 2 shown]
	v_fmac_f32_e32 v112, v62, v10
	v_mul_f32_e32 v10, v96, v19
	v_mul_f32_e32 v17, v95, v19
	;; [unrolled: 1-line block ×3, first 2 shown]
	v_fma_f32 v110, v59, v6, -v11
	v_mul_f32_e32 v11, v93, v13
	v_mul_f32_e32 v59, v98, v15
	;; [unrolled: 1-line block ×3, first 2 shown]
	v_fma_f32 v61, v71, v4, -v114
	v_fmac_f32_e32 v115, v72, v4
	v_fma_f32 v62, v75, v6, -v5
	v_fmac_f32_e32 v116, v76, v6
	v_mul_f32_e32 v4, v38, v13
	v_fma_f32 v67, v67, v26, -v1
	v_fma_f32 v1, v83, v16, -v128
	v_fmac_f32_e32 v129, v84, v16
	v_fma_f32 v6, v91, v16, -v35
	v_fmac_f32_e32 v9, v92, v16
	v_fma_f32 v16, v38, v12, -v60
	v_mul_f32_e32 v119, v77, v3
	v_mul_f32_e32 v3, v64, v25
	;; [unrolled: 1-line block ×3, first 2 shown]
	v_fma_f32 v71, v73, v0, -v7
	v_fmac_f32_e32 v117, v74, v0
	v_fma_f32 v72, v77, v2, -v118
	v_fma_f32 v73, v103, v30, -v120
	v_fmac_f32_e32 v121, v104, v30
	v_fma_f32 v30, v79, v28, -v122
	v_fmac_f32_e32 v29, v80, v28
	;; [unrolled: 2-line block ×5, first 2 shown]
	v_fmac_f32_e32 v21, v86, v20
	v_fma_f32 v7, v95, v18, -v10
	v_fmac_f32_e32 v17, v96, v18
	v_fma_f32 v10, v93, v12, -v19
	v_fmac_f32_e32 v4, v39, v12
	v_fmac_f32_e32 v11, v94, v12
	v_fma_f32 v12, v97, v14, -v59
	v_fmac_f32_e32 v15, v98, v14
	v_add_f32_e32 v14, v105, v16
	v_fmac_f32_e32 v119, v78, v2
	v_fma_f32 v2, v85, v20, -v130
	v_fma_f32 v5, v87, v18, -v23
	;; [unrolled: 1-line block ×3, first 2 shown]
	v_fmac_f32_e32 v25, v64, v24
	v_fma_f32 v3, v89, v22, -v131
	v_fmac_f32_e32 v8, v90, v22
	v_add_f32_e32 v20, v100, v9
	v_sub_f32_e32 v22, v16, v0
	v_add_f32_e32 v24, v0, v28
	v_sub_f32_e32 v31, v4, v123
	v_sub_f32_e32 v35, v125, v127
	;; [unrolled: 1-line block ×4, first 2 shown]
	v_add_f32_e32 v16, v16, v74
	v_sub_f32_e32 v82, v7, v6
	v_sub_f32_e32 v83, v61, v62
	;; [unrolled: 1-line block ×4, first 2 shown]
	v_add_f32_e32 v87, v102, v11
	v_sub_f32_e32 v89, v10, v12
	v_sub_f32_e32 v92, v72, v71
	v_add_f32_e32 v141, v14, v0
	v_add_f32_e32 v14, v43, v21
	v_fmac_f32_e32 v27, v68, v26
	v_fmac_f32_e32 v34, v88, v18
	v_add_f32_e32 v18, v106, v4
	v_add_f32_e32 v19, v99, v6
	v_sub_f32_e32 v23, v74, v28
	v_add_f32_e32 v26, v123, v127
	v_add_f32_e32 v59, v7, v61
	;; [unrolled: 1-line block ×6, first 2 shown]
	v_sub_f32_e32 v124, v1, v5
	v_sub_f32_e32 v126, v5, v1
	v_add_f32_e32 v132, v1, v110
	v_sub_f32_e32 v133, v1, v110
	v_add_f32_e32 v1, v42, v2
	v_sub_f32_e32 v38, v6, v7
	v_sub_f32_e32 v39, v62, v61
	;; [unrolled: 1-line block ×11, first 2 shown]
	v_add_f32_e32 v4, v4, v125
	v_add_f32_e32 v6, v6, v62
	;; [unrolled: 1-line block ×3, first 2 shown]
	v_sub_f32_e32 v90, v12, v10
	v_sub_f32_e32 v93, v71, v72
	v_add_f32_e32 v94, v10, v72
	v_sub_f32_e32 v95, v10, v72
	v_sub_f32_e32 v96, v15, v117
	v_add_f32_e32 v10, v15, v117
	;; [unrolled: 3-line block ×3, first 2 shown]
	v_sub_f32_e32 v130, v110, v32
	v_add_f32_e32 v17, v20, v17
	v_sub_f32_e32 v20, v3, v2
	v_add_f32_e32 v87, v87, v15
	v_sub_f32_e32 v15, v33, v108
	v_fma_f32 v0, -0.5, v24, v105
	v_add_f32_e32 v148, v31, v35
	v_add_f32_e32 v24, v14, v8
	v_sub_f32_e32 v14, v8, v21
	v_fma_f32 v105, -0.5, v16, v105
	v_sub_f32_e32 v16, v111, v112
	v_add_f32_e32 v31, v36, v13
	v_add_f32_e32 v82, v82, v83
	;; [unrolled: 1-line block ×5, first 2 shown]
	v_sub_f32_e32 v77, v123, v127
	v_add_f32_e32 v88, v12, v71
	v_sub_f32_e32 v91, v12, v71
	v_sub_f32_e32 v114, v117, v119
	;; [unrolled: 1-line block ×3, first 2 shown]
	v_add_f32_e32 v135, v34, v109
	v_sub_f32_e32 v136, v129, v34
	v_sub_f32_e32 v137, v34, v129
	v_add_f32_e32 v18, v18, v123
	v_add_f32_e32 v123, v3, v33
	;; [unrolled: 1-line block ×3, first 2 shown]
	v_sub_f32_e32 v142, v2, v3
	v_add_f32_e32 v86, v86, v12
	v_sub_f32_e32 v143, v3, v33
	v_sub_f32_e32 v12, v108, v33
	v_add_f32_e32 v34, v120, v34
	v_add_f32_e32 v120, v2, v108
	v_sub_f32_e32 v144, v2, v108
	v_add_f32_e32 v145, v1, v3
	v_add_f32_e32 v147, v22, v23
	v_fma_f32 v1, -0.5, v26, v106
	v_add_f32_e32 v22, v8, v111
	v_sub_f32_e32 v23, v21, v8
	v_fma_f32 v2, -0.5, v59, v99
	v_fma_f32 v3, -0.5, v60, v100
	v_sub_f32_e32 v26, v112, v111
	v_add_f32_e32 v35, v67, v30
	v_add_f32_e32 v60, v13, v73
	v_sub_f32_e32 v80, v7, v61
	v_sub_f32_e32 v103, v11, v119
	v_add_f32_e32 v11, v11, v119
	v_sub_f32_e32 v128, v5, v32
	v_sub_f32_e32 v138, v129, v113
	v_add_f32_e32 v129, v129, v113
	v_add_f32_e32 v118, v118, v5
	v_sub_f32_e32 v146, v8, v111
	v_add_f32_e32 v149, v38, v39
	v_sub_f32_e32 v150, v21, v112
	v_add_f32_e32 v21, v21, v112
	v_add_f32_e32 v151, v63, v64
	;; [unrolled: 1-line block ×3, first 2 shown]
	v_fmac_f32_e32 v106, -0.5, v4
	v_fma_f32 v4, -0.5, v6, v99
	v_fma_f32 v5, -0.5, v9, v100
	v_sub_f32_e32 v39, v67, v13
	v_add_f32_e32 v85, v90, v93
	v_sub_f32_e32 v63, v30, v73
	v_add_f32_e32 v64, v27, v29
	v_sub_f32_e32 v65, v25, v27
	v_sub_f32_e32 v66, v121, v29
	v_add_f32_e32 v90, v124, v130
	v_fma_f32 v8, -0.5, v122, v40
	v_add_f32_e32 v122, v20, v15
	v_add_f32_e32 v124, v14, v16
	;; [unrolled: 1-line block ×4, first 2 shown]
	v_sub_f32_e32 v81, v127, v125
	v_sub_f32_e32 v131, v32, v110
	;; [unrolled: 1-line block ×4, first 2 shown]
	v_add_f32_e32 v89, v98, v114
	v_add_f32_e32 v100, v142, v12
	v_fma_f32 v12, -0.5, v123, v42
	v_sub_f32_e32 v114, v13, v73
	v_fma_f32 v13, -0.5, v22, v43
	v_add_f32_e32 v123, v23, v26
	v_fma_f32 v14, -0.5, v35, v36
	v_fma_f32 v36, -0.5, v60, v36
	v_add_f32_e32 v60, v18, v127
	v_add_f32_e32 v61, v19, v61
	v_fmamk_f32 v18, v69, 0x3f737871, v0
	v_fmamk_f32 v19, v70, 0xbf737871, v1
	;; [unrolled: 1-line block ×4, first 2 shown]
	v_fma_f32 v7, -0.5, v10, v102
	v_fmac_f32_e32 v102, -0.5, v11
	v_fma_f32 v11, -0.5, v129, v41
	v_fmac_f32_e32 v43, -0.5, v21
	v_add_f32_e32 v129, v39, v63
	v_fma_f32 v15, -0.5, v64, v37
	v_add_f32_e32 v130, v65, v66
	v_add_f32_e32 v63, v17, v115
	;; [unrolled: 1-line block ×6, first 2 shown]
	v_fmamk_f32 v16, v77, 0xbf737871, v105
	v_fmamk_f32 v17, v78, 0x3f737871, v106
	;; [unrolled: 1-line block ×4, first 2 shown]
	v_fmac_f32_e32 v105, 0x3f737871, v77
	v_fmac_f32_e32 v106, 0xbf737871, v78
	;; [unrolled: 1-line block ×8, first 2 shown]
	v_sub_f32_e32 v104, v119, v117
	v_add_f32_e32 v81, v68, v81
	v_fma_f32 v6, -0.5, v88, v101
	v_fma_f32 v101, -0.5, v94, v101
	v_add_f32_e32 v68, v25, v121
	v_add_f32_e32 v93, v126, v131
	v_fma_f32 v10, -0.5, v132, v40
	v_add_f32_e32 v126, v38, v59
	v_add_f32_e32 v59, v141, v28
	v_fmac_f32_e32 v18, 0x3f167918, v77
	v_fmac_f32_e32 v19, 0xbf167918, v78
	;; [unrolled: 1-line block ×4, first 2 shown]
	v_fma_f32 v9, -0.5, v135, v41
	v_fma_f32 v42, -0.5, v120, v42
	v_fmac_f32_e32 v16, 0x3f167918, v69
	v_fmac_f32_e32 v17, 0xbf167918, v70
	;; [unrolled: 1-line block ×12, first 2 shown]
	v_sub_f32_e32 v140, v109, v113
	v_add_f32_e32 v88, v97, v104
	v_sub_f32_e32 v94, v27, v25
	v_sub_f32_e32 v99, v67, v30
	;; [unrolled: 1-line block ×3, first 2 shown]
	v_fmac_f32_e32 v37, -0.5, v68
	v_add_f32_e32 v66, v118, v32
	v_add_f32_e32 v68, v145, v33
	v_fmamk_f32 v26, v96, 0xbf737871, v101
	v_fmac_f32_e32 v101, 0x3f737871, v96
	v_fmamk_f32 v27, v91, 0x3f737871, v102
	v_fmac_f32_e32 v102, 0xbf737871, v91
	;; [unrolled: 2-line block ×4, first 2 shown]
	v_fmamk_f32 v32, v150, 0x3f737871, v12
	v_fmamk_f32 v33, v144, 0xbf737871, v13
	v_add_f32_e32 v59, v59, v74
	v_add_f32_e32 v60, v60, v125
	;; [unrolled: 1-line block ×4, first 2 shown]
	v_fmac_f32_e32 v18, 0x3e9e377a, v147
	v_fmac_f32_e32 v19, 0x3e9e377a, v148
	;; [unrolled: 1-line block ×4, first 2 shown]
	v_sub_f32_e32 v139, v113, v109
	v_sub_f32_e32 v40, v29, v121
	;; [unrolled: 1-line block ×3, first 2 shown]
	v_add_f32_e32 v67, v34, v109
	v_add_f32_e32 v71, v24, v111
	v_fmamk_f32 v24, v103, 0x3f737871, v6
	v_fmac_f32_e32 v6, 0xbf737871, v103
	v_fmamk_f32 v25, v95, 0xbf737871, v7
	v_fmac_f32_e32 v7, 0x3f737871, v95
	;; [unrolled: 2-line block ×6, first 2 shown]
	v_fmac_f32_e32 v16, 0x3e9e377a, v152
	v_fmac_f32_e32 v17, 0x3e9e377a, v81
	;; [unrolled: 1-line block ×14, first 2 shown]
	v_add_f32_e32 v98, v137, v140
	v_fmac_f32_e32 v26, 0x3f167918, v103
	v_fmac_f32_e32 v101, 0xbf167918, v103
	v_fmac_f32_e32 v27, 0xbf167918, v95
	v_fmac_f32_e32 v102, 0x3f167918, v95
	v_fmac_f32_e32 v30, 0x3f167918, v138
	v_fmac_f32_e32 v10, 0xbf167918, v138
	v_fmac_f32_e32 v31, 0xbf167918, v133
	v_fmac_f32_e32 v11, 0x3f167918, v133
	v_fmac_f32_e32 v32, 0x3f167918, v146
	v_fmac_f32_e32 v33, 0xbf167918, v143
	ds_write2_b64 v45, v[59:60], v[61:62] offset1:5
	ds_write2_b64 v45, v[18:19], v[22:23] offset0:10 offset1:15
	ds_write2_b64 v45, v[16:17], v[20:21] offset0:20 offset1:25
	;; [unrolled: 1-line block ×4, first 2 shown]
	v_lshlrev_b32_sdwa v0, v107, v50 dst_sel:DWORD dst_unused:UNUSED_PAD src0_sel:DWORD src1_sel:BYTE_0
	v_add_f32_e32 v97, v136, v139
	v_fmamk_f32 v38, v120, 0x3f737871, v14
	v_fmac_f32_e32 v14, 0xbf737871, v120
	v_fmamk_f32 v39, v114, 0xbf737871, v15
	v_fmac_f32_e32 v15, 0x3f737871, v114
	v_fmac_f32_e32 v24, 0x3f167918, v96
	;; [unrolled: 1-line block ×13, first 2 shown]
	v_add_f32_e32 v94, v94, v40
	v_fmamk_f32 v40, v104, 0xbf737871, v36
	v_fmac_f32_e32 v36, 0x3f737871, v104
	v_fmamk_f32 v41, v99, 0x3f737871, v37
	v_fmac_f32_e32 v37, 0xbf737871, v99
	v_fmac_f32_e32 v12, 0xbf167918, v146
	v_fmac_f32_e32 v13, 0x3f167918, v143
	v_add_f32_e32 v63, v64, v72
	v_add_f32_e32 v64, v65, v119
	;; [unrolled: 1-line block ×6, first 2 shown]
	v_fmac_f32_e32 v26, 0x3e9e377a, v85
	v_fmac_f32_e32 v101, 0x3e9e377a, v85
	;; [unrolled: 1-line block ×10, first 2 shown]
	v_lshlrev_b32_sdwa v1, v107, v58 dst_sel:DWORD dst_unused:UNUSED_PAD src0_sel:DWORD src1_sel:BYTE_0
	v_add3_u32 v0, 0, v0, v54
	v_lshlrev_b32_e32 v50, 1, v44
	v_fmac_f32_e32 v38, 0x3f167918, v104
	v_fmac_f32_e32 v14, 0xbf167918, v104
	;; [unrolled: 1-line block ×22, first 2 shown]
	ds_write2_b64 v45, v[63:64], v[65:66] offset0:50 offset1:55
	ds_write2_b64 v45, v[24:25], v[28:29] offset0:60 offset1:65
	;; [unrolled: 1-line block ×5, first 2 shown]
	v_add3_u32 v4, 0, v1, v54
	ds_write2_b64 v0, v[67:68], v[32:33] offset0:100 offset1:110
	ds_write2_b64 v0, v[34:35], v[42:43] offset0:120 offset1:130
	ds_write_b64 v0, v[12:13] offset:1120
	v_add_nc_u32_e32 v0, 20, v50
	v_mov_b32_e32 v1, v51
	v_add_f32_e32 v69, v86, v73
	v_add_f32_e32 v70, v87, v121
	v_fmac_f32_e32 v38, 0x3e9e377a, v126
	v_fmac_f32_e32 v14, 0x3e9e377a, v126
	;; [unrolled: 1-line block ×8, first 2 shown]
	v_add_nc_u32_e32 v2, 30, v50
	v_mov_b32_e32 v3, v51
	v_lshlrev_b64 v[0:1], 3, v[0:1]
	ds_write2_b64 v4, v[69:70], v[38:39] offset0:100 offset1:110
	ds_write2_b64 v4, v[40:41], v[36:37] offset0:120 offset1:130
	ds_write_b64 v4, v[14:15] offset:1120
	v_lshlrev_b32_e32 v4, 1, v57
	v_mov_b32_e32 v5, v51
	v_lshlrev_b64 v[2:3], 3, v[2:3]
	v_lshlrev_b32_e32 v6, 1, v56
	v_mov_b32_e32 v7, v51
	v_add_co_u32 v0, s0, s12, v0
	v_lshlrev_b64 v[4:5], 3, v[4:5]
	v_add_co_ci_u32_e64 v1, s0, s13, v1, s0
	v_add_co_u32 v2, s0, s12, v2
	v_lshlrev_b64 v[6:7], 3, v[6:7]
	v_add_co_ci_u32_e64 v3, s0, s13, v3, s0
	v_add_co_u32 v4, s0, s12, v4
	v_add_co_ci_u32_e64 v5, s0, s13, v5, s0
	v_add_nc_u32_e32 v16, 60, v50
	v_mov_b32_e32 v17, v51
	v_add_co_u32 v6, s0, s12, v6
	v_add_co_ci_u32_e64 v7, s0, s13, v7, s0
	v_add_nc_u32_e32 v24, 0x46, v50
	v_mov_b32_e32 v25, v51
	s_waitcnt lgkmcnt(0)
	s_barrier
	buffer_gl0_inv
	s_clause 0x1
	global_load_dwordx4 v[8:11], v[0:1], off offset:320
	global_load_dwordx4 v[12:15], v[2:3], off offset:320
	v_lshlrev_b64 v[0:1], 3, v[16:17]
	s_clause 0x1
	global_load_dwordx4 v[16:19], v[4:5], off offset:320
	global_load_dwordx4 v[20:23], v[6:7], off offset:320
	v_mov_b32_e32 v5, v51
	v_or_b32_e32 v4, 0x50, v50
	v_lshlrev_b64 v[2:3], 3, v[24:25]
	v_lshlrev_b64 v[6:7], 3, v[50:51]
	v_add_nc_u32_e32 v50, 0x5a, v50
	v_add_co_u32 v0, s0, s12, v0
	v_lshlrev_b64 v[4:5], 3, v[4:5]
	v_add_co_ci_u32_e64 v1, s0, s13, v1, s0
	v_add_co_u32 v2, s0, s12, v2
	v_lshlrev_b64 v[24:25], 3, v[50:51]
	v_add_co_ci_u32_e64 v3, s0, s13, v3, s0
	v_add_co_u32 v4, s0, s12, v4
	v_add_co_ci_u32_e64 v5, s0, s13, v5, s0
	v_lshlrev_b32_e32 v40, 1, v55
	v_mov_b32_e32 v41, v51
	v_add_co_u32 v36, s0, s12, v24
	v_add_co_ci_u32_e64 v37, s0, s13, v25, s0
	s_clause 0x3
	global_load_dwordx4 v[24:27], v[0:1], off offset:320
	global_load_dwordx4 v[28:31], v[2:3], off offset:320
	;; [unrolled: 1-line block ×4, first 2 shown]
	v_lshlrev_b64 v[0:1], 3, v[40:41]
	v_add_co_u32 v2, s0, s12, v6
	v_add_co_ci_u32_e64 v3, s0, s13, v7, s0
	v_add_co_u32 v0, s0, s12, v0
	v_add_co_ci_u32_e64 v1, s0, s13, v1, s0
	s_clause 0x1
	global_load_dwordx4 v[40:43], v[2:3], off offset:320
	global_load_dwordx4 v[54:57], v[0:1], off offset:320
	ds_read2_b64 v[58:61], v45 offset0:60 offset1:65
	ds_read2_b64 v[62:65], v45 offset0:110 offset1:115
	;; [unrolled: 1-line block ×9, first 2 shown]
	ds_read2_b32 v[106:107], v45 offset0:110 offset1:111
	ds_read2_b64 v[0:3], v45 offset0:45 offset1:50
	ds_read_b64 v[108:109], v53
	ds_read2_b64 v[4:7], v45 offset0:5 offset1:10
	ds_read2_b64 v[94:97], v45 offset0:15 offset1:20
	;; [unrolled: 1-line block ×4, first 2 shown]
	s_waitcnt vmcnt(0) lgkmcnt(0)
	s_barrier
	buffer_gl0_inv
	v_mul_f32_e32 v50, v59, v9
	v_mul_f32_e32 v9, v58, v9
	;; [unrolled: 1-line block ×16, first 2 shown]
	v_fma_f32 v50, v58, v8, -v50
	v_fmac_f32_e32 v9, v59, v8
	v_fma_f32 v53, v62, v10, -v53
	v_fmac_f32_e32 v11, v63, v10
	;; [unrolled: 2-line block ×3, first 2 shown]
	v_fmac_f32_e32 v15, v65, v14
	v_fmac_f32_e32 v17, v67, v16
	;; [unrolled: 1-line block ×4, first 2 shown]
	v_mul_f32_e32 v116, v75, v25
	v_mul_f32_e32 v25, v74, v25
	;; [unrolled: 1-line block ×24, first 2 shown]
	v_fma_f32 v41, v64, v14, -v111
	v_fma_f32 v14, v66, v16, -v112
	;; [unrolled: 1-line block ×5, first 2 shown]
	v_fmac_f32_e32 v23, v73, v22
	v_fma_f32 v22, v74, v24, -v116
	v_fmac_f32_e32 v25, v75, v24
	v_fma_f32 v24, v78, v26, -v117
	;; [unrolled: 2-line block ×10, first 2 shown]
	v_fma_f32 v2, v40, v2, -v57
	v_fmac_f32_e32 v12, v40, v3
	v_fma_f32 v3, v54, v106, -v8
	v_fmac_f32_e32 v55, v107, v54
	v_fmac_f32_e32 v10, v93, v56
	v_add_f32_e32 v8, v108, v2
	v_add_f32_e32 v40, v109, v12
	;; [unrolled: 1-line block ×6, first 2 shown]
	v_sub_f32_e32 v66, v55, v10
	v_add_f32_e32 v55, v55, v10
	v_add_f32_e32 v67, v3, v42
	;; [unrolled: 1-line block ×11, first 2 shown]
	v_sub_f32_e32 v77, v17, v19
	v_add_f32_e32 v78, v17, v19
	v_add_f32_e32 v17, v99, v21
	v_sub_f32_e32 v81, v21, v23
	v_add_f32_e32 v82, v21, v23
	v_add_f32_e32 v21, v98, v18
	v_add_f32_e32 v83, v18, v20
	v_sub_f32_e32 v84, v18, v20
	v_add_f32_e32 v18, v101, v25
	v_sub_f32_e32 v85, v25, v27
	v_add_f32_e32 v86, v25, v27
	v_add_f32_e32 v25, v100, v22
	v_add_f32_e32 v87, v22, v24
	v_sub_f32_e32 v88, v22, v24
	;; [unrolled: 6-line block ×3, first 2 shown]
	v_add_f32_e32 v26, v105, v33
	v_sub_f32_e32 v62, v12, v43
	v_sub_f32_e32 v65, v2, v38
	;; [unrolled: 1-line block ×4, first 2 shown]
	v_add_f32_e32 v76, v96, v14
	v_add_f32_e32 v79, v14, v16
	v_sub_f32_e32 v93, v33, v35
	v_add_f32_e32 v33, v33, v35
	v_add_f32_e32 v106, v104, v30
	;; [unrolled: 1-line block ×3, first 2 shown]
	v_sub_f32_e32 v110, v30, v32
	v_add_f32_e32 v30, v1, v37
	v_sub_f32_e32 v111, v37, v39
	v_add_f32_e32 v37, v37, v39
	v_add_f32_e32 v113, v34, v36
	;; [unrolled: 1-line block ×6, first 2 shown]
	v_fma_f32 v108, -0.5, v64, v108
	v_fmac_f32_e32 v109, -0.5, v63
	v_fma_f32 v4, -0.5, v67, v4
	v_fma_f32 v5, -0.5, v55, v5
	v_sub_f32_e32 v73, v13, v15
	v_add_f32_e32 v10, v57, v53
	v_add_f32_e32 v11, v59, v11
	;; [unrolled: 1-line block ×4, first 2 shown]
	v_sub_f32_e32 v50, v50, v53
	v_sub_f32_e32 v58, v58, v41
	v_add_f32_e32 v15, v75, v19
	v_add_f32_e32 v17, v17, v23
	v_add_f32_e32 v19, v18, v27
	v_add_f32_e32 v23, v26, v35
	v_fma_f32 v6, -0.5, v69, v6
	v_fmac_f32_e32 v7, -0.5, v71
	v_fma_f32 v26, -0.5, v72, v94
	v_fma_f32 v27, -0.5, v74, v95
	v_sub_f32_e32 v80, v14, v16
	v_add_f32_e32 v112, v0, v34
	v_sub_f32_e32 v114, v34, v36
	v_add_f32_e32 v14, v76, v16
	v_add_f32_e32 v16, v21, v20
	;; [unrolled: 1-line block ×6, first 2 shown]
	v_fma_f32 v96, -0.5, v79, v96
	v_fmac_f32_e32 v97, -0.5, v78
	v_fma_f32 v28, -0.5, v83, v98
	v_fma_f32 v29, -0.5, v82, v99
	;; [unrolled: 1-line block ×3, first 2 shown]
	v_fmac_f32_e32 v101, -0.5, v86
	v_fma_f32 v30, -0.5, v91, v102
	v_fma_f32 v31, -0.5, v90, v103
	;; [unrolled: 1-line block ×3, first 2 shown]
	v_fmac_f32_e32 v105, -0.5, v33
	v_fma_f32 v0, -0.5, v113, v0
	v_fmac_f32_e32 v1, -0.5, v37
	ds_write2_b64 v45, v[2:3], v[8:9] offset1:5
	ds_write2_b64 v45, v[10:11], v[12:13] offset0:10 offset1:15
	v_fmamk_f32 v2, v62, 0x3f5db3d7, v108
	v_fmamk_f32 v3, v65, 0xbf5db3d7, v109
	;; [unrolled: 1-line block ×4, first 2 shown]
	v_fmac_f32_e32 v108, 0xbf5db3d7, v62
	v_fmac_f32_e32 v109, 0x3f5db3d7, v65
	;; [unrolled: 1-line block ×4, first 2 shown]
	v_fmamk_f32 v10, v70, 0x3f5db3d7, v6
	v_fmamk_f32 v11, v50, 0xbf5db3d7, v7
	;; [unrolled: 1-line block ×4, first 2 shown]
	v_fmac_f32_e32 v6, 0xbf5db3d7, v70
	v_fmac_f32_e32 v7, 0x3f5db3d7, v50
	v_fmac_f32_e32 v26, 0xbf5db3d7, v73
	v_fmac_f32_e32 v27, 0x3f5db3d7, v58
	v_add_f32_e32 v22, v106, v32
	v_add_f32_e32 v24, v112, v36
	v_fmamk_f32 v32, v77, 0x3f5db3d7, v96
	v_fmac_f32_e32 v96, 0xbf5db3d7, v77
	v_fmamk_f32 v33, v80, 0xbf5db3d7, v97
	v_fmac_f32_e32 v97, 0x3f5db3d7, v80
	;; [unrolled: 2-line block ×12, first 2 shown]
	ds_write2_b64 v45, v[2:3], v[8:9] offset0:50 offset1:55
	ds_write2_b64 v45, v[108:109], v[4:5] offset0:100 offset1:105
	ds_write2_b64 v45, v[10:11], v[12:13] offset0:60 offset1:65
	ds_write2_b64 v45, v[6:7], v[26:27] offset0:110 offset1:115
	ds_write2_b64 v45, v[14:15], v[16:17] offset0:20 offset1:25
	ds_write2_b64 v45, v[32:33], v[34:35] offset0:70 offset1:75
	ds_write2_b64 v45, v[96:97], v[28:29] offset0:120 offset1:125
	ds_write2_b64 v45, v[18:19], v[20:21] offset0:30 offset1:35
	ds_write2_b64 v45, v[36:37], v[38:39] offset0:80 offset1:85
	ds_write2_b64 v45, v[100:101], v[30:31] offset0:130 offset1:135
	ds_write2_b64 v45, v[22:23], v[24:25] offset0:40 offset1:45
	ds_write2_b64 v45, v[40:41], v[42:43] offset0:90 offset1:95
	ds_write2_b64 v45, v[104:105], v[0:1] offset0:140 offset1:145
	s_waitcnt lgkmcnt(0)
	s_barrier
	buffer_gl0_inv
	s_and_saveexec_b32 s0, vcc_lo
	s_cbranch_execz .LBB0_20
; %bb.19:
	v_mul_lo_u32 v2, s3, v48
	v_mul_lo_u32 v3, s2, v49
	v_mad_u64_u32 v[0:1], null, s2, v48, 0
	v_lshl_add_u32 v20, v44, 3, v52
	v_mov_b32_e32 v45, v51
	v_lshlrev_b64 v[8:9], 3, v[46:47]
	v_add_nc_u32_e32 v50, 5, v44
	v_add3_u32 v1, v1, v3, v2
	v_lshlrev_b64 v[14:15], 3, v[44:45]
	v_lshlrev_b64 v[10:11], 3, v[50:51]
	v_add_nc_u32_e32 v50, 10, v44
	v_lshlrev_b64 v[12:13], 3, v[0:1]
	ds_read2_b64 v[0:3], v20 offset1:5
	ds_read2_b64 v[4:7], v20 offset0:10 offset1:15
	v_lshlrev_b64 v[16:17], 3, v[50:51]
	v_add_nc_u32_e32 v50, 15, v44
	v_add_co_u32 v12, vcc_lo, s10, v12
	v_add_co_ci_u32_e32 v13, vcc_lo, s11, v13, vcc_lo
	v_add_co_u32 v21, vcc_lo, v12, v8
	v_add_co_ci_u32_e32 v22, vcc_lo, v13, v9, vcc_lo
	v_lshlrev_b64 v[12:13], 3, v[50:51]
	v_add_co_u32 v8, vcc_lo, v21, v14
	v_add_co_ci_u32_e32 v9, vcc_lo, v22, v15, vcc_lo
	v_add_co_u32 v14, vcc_lo, v21, v10
	v_add_co_ci_u32_e32 v15, vcc_lo, v22, v11, vcc_lo
	s_waitcnt lgkmcnt(1)
	global_store_dwordx2 v[8:9], v[0:1], off
	ds_read2_b64 v[8:11], v20 offset0:20 offset1:25
	v_add_nc_u32_e32 v50, 20, v44
	v_add_co_u32 v0, vcc_lo, v21, v16
	v_add_co_ci_u32_e32 v1, vcc_lo, v22, v17, vcc_lo
	v_lshlrev_b64 v[16:17], 3, v[50:51]
	v_add_nc_u32_e32 v50, 25, v44
	v_add_co_u32 v12, vcc_lo, v21, v12
	v_add_co_ci_u32_e32 v13, vcc_lo, v22, v13, vcc_lo
	v_lshlrev_b64 v[18:19], 3, v[50:51]
	v_add_nc_u32_e32 v50, 30, v44
	v_add_co_u32 v16, vcc_lo, v21, v16
	v_add_co_ci_u32_e32 v17, vcc_lo, v22, v17, vcc_lo
	global_store_dwordx2 v[14:15], v[2:3], off
	s_waitcnt lgkmcnt(1)
	global_store_dwordx2 v[0:1], v[4:5], off
	global_store_dwordx2 v[12:13], v[6:7], off
	s_waitcnt lgkmcnt(0)
	global_store_dwordx2 v[16:17], v[8:9], off
	v_lshlrev_b64 v[8:9], 3, v[50:51]
	v_add_nc_u32_e32 v50, 35, v44
	ds_read2_b64 v[0:3], v20 offset0:30 offset1:35
	ds_read2_b64 v[4:7], v20 offset0:40 offset1:45
	v_add_co_u32 v12, vcc_lo, v21, v18
	v_lshlrev_b64 v[14:15], 3, v[50:51]
	v_add_nc_u32_e32 v50, 40, v44
	v_add_co_ci_u32_e32 v13, vcc_lo, v22, v19, vcc_lo
	v_add_co_u32 v8, vcc_lo, v21, v8
	v_lshlrev_b64 v[16:17], 3, v[50:51]
	v_add_nc_u32_e32 v50, 45, v44
	v_add_co_ci_u32_e32 v9, vcc_lo, v22, v9, vcc_lo
	v_add_co_u32 v14, vcc_lo, v21, v14
	v_add_co_ci_u32_e32 v15, vcc_lo, v22, v15, vcc_lo
	v_lshlrev_b64 v[18:19], 3, v[50:51]
	v_add_nc_u32_e32 v50, 50, v44
	v_add_co_u32 v16, vcc_lo, v21, v16
	v_add_co_ci_u32_e32 v17, vcc_lo, v22, v17, vcc_lo
	global_store_dwordx2 v[12:13], v[10:11], off
	s_waitcnt lgkmcnt(1)
	global_store_dwordx2 v[8:9], v[0:1], off
	global_store_dwordx2 v[14:15], v[2:3], off
	s_waitcnt lgkmcnt(0)
	global_store_dwordx2 v[16:17], v[4:5], off
	v_lshlrev_b64 v[4:5], 3, v[50:51]
	v_add_nc_u32_e32 v50, 55, v44
	ds_read2_b64 v[0:3], v20 offset0:50 offset1:55
	ds_read2_b64 v[8:11], v20 offset0:60 offset1:65
	v_add_co_u32 v12, vcc_lo, v21, v18
	v_lshlrev_b64 v[14:15], 3, v[50:51]
	v_add_nc_u32_e32 v50, 60, v44
	v_add_co_ci_u32_e32 v13, vcc_lo, v22, v19, vcc_lo
	v_add_co_u32 v4, vcc_lo, v21, v4
	v_lshlrev_b64 v[16:17], 3, v[50:51]
	v_add_nc_u32_e32 v50, 0x41, v44
	v_add_co_ci_u32_e32 v5, vcc_lo, v22, v5, vcc_lo
	;; [unrolled: 24-line block ×6, first 2 shown]
	v_add_co_u32 v14, vcc_lo, v21, v14
	v_lshlrev_b64 v[18:19], 3, v[50:51]
	v_add_co_ci_u32_e32 v15, vcc_lo, v22, v15, vcc_lo
	v_add_co_u32 v16, vcc_lo, v21, v16
	v_add_co_ci_u32_e32 v17, vcc_lo, v22, v17, vcc_lo
	v_add_co_u32 v18, vcc_lo, v21, v18
	v_add_co_ci_u32_e32 v19, vcc_lo, v22, v19, vcc_lo
	global_store_dwordx2 v[12:13], v[6:7], off
	s_waitcnt lgkmcnt(1)
	global_store_dwordx2 v[4:5], v[0:1], off
	global_store_dwordx2 v[14:15], v[2:3], off
	s_waitcnt lgkmcnt(0)
	global_store_dwordx2 v[16:17], v[8:9], off
	global_store_dwordx2 v[18:19], v[10:11], off
.LBB0_20:
	s_endpgm
	.section	.rodata,"a",@progbits
	.p2align	6, 0x0
	.amdhsa_kernel fft_rtc_fwd_len150_factors_10_5_3_wgs_60_tpt_5_halfLds_sp_op_CI_CI_unitstride_sbrr_C2R_dirReg
		.amdhsa_group_segment_fixed_size 0
		.amdhsa_private_segment_fixed_size 0
		.amdhsa_kernarg_size 104
		.amdhsa_user_sgpr_count 6
		.amdhsa_user_sgpr_private_segment_buffer 1
		.amdhsa_user_sgpr_dispatch_ptr 0
		.amdhsa_user_sgpr_queue_ptr 0
		.amdhsa_user_sgpr_kernarg_segment_ptr 1
		.amdhsa_user_sgpr_dispatch_id 0
		.amdhsa_user_sgpr_flat_scratch_init 0
		.amdhsa_user_sgpr_private_segment_size 0
		.amdhsa_wavefront_size32 1
		.amdhsa_uses_dynamic_stack 0
		.amdhsa_system_sgpr_private_segment_wavefront_offset 0
		.amdhsa_system_sgpr_workgroup_id_x 1
		.amdhsa_system_sgpr_workgroup_id_y 0
		.amdhsa_system_sgpr_workgroup_id_z 0
		.amdhsa_system_sgpr_workgroup_info 0
		.amdhsa_system_vgpr_workitem_id 0
		.amdhsa_next_free_vgpr 153
		.amdhsa_next_free_sgpr 27
		.amdhsa_reserve_vcc 1
		.amdhsa_reserve_flat_scratch 0
		.amdhsa_float_round_mode_32 0
		.amdhsa_float_round_mode_16_64 0
		.amdhsa_float_denorm_mode_32 3
		.amdhsa_float_denorm_mode_16_64 3
		.amdhsa_dx10_clamp 1
		.amdhsa_ieee_mode 1
		.amdhsa_fp16_overflow 0
		.amdhsa_workgroup_processor_mode 1
		.amdhsa_memory_ordered 1
		.amdhsa_forward_progress 0
		.amdhsa_shared_vgpr_count 0
		.amdhsa_exception_fp_ieee_invalid_op 0
		.amdhsa_exception_fp_denorm_src 0
		.amdhsa_exception_fp_ieee_div_zero 0
		.amdhsa_exception_fp_ieee_overflow 0
		.amdhsa_exception_fp_ieee_underflow 0
		.amdhsa_exception_fp_ieee_inexact 0
		.amdhsa_exception_int_div_zero 0
	.end_amdhsa_kernel
	.text
.Lfunc_end0:
	.size	fft_rtc_fwd_len150_factors_10_5_3_wgs_60_tpt_5_halfLds_sp_op_CI_CI_unitstride_sbrr_C2R_dirReg, .Lfunc_end0-fft_rtc_fwd_len150_factors_10_5_3_wgs_60_tpt_5_halfLds_sp_op_CI_CI_unitstride_sbrr_C2R_dirReg
                                        ; -- End function
	.section	.AMDGPU.csdata,"",@progbits
; Kernel info:
; codeLenInByte = 13032
; NumSgprs: 29
; NumVgprs: 153
; ScratchSize: 0
; MemoryBound: 0
; FloatMode: 240
; IeeeMode: 1
; LDSByteSize: 0 bytes/workgroup (compile time only)
; SGPRBlocks: 3
; VGPRBlocks: 19
; NumSGPRsForWavesPerEU: 29
; NumVGPRsForWavesPerEU: 153
; Occupancy: 6
; WaveLimiterHint : 1
; COMPUTE_PGM_RSRC2:SCRATCH_EN: 0
; COMPUTE_PGM_RSRC2:USER_SGPR: 6
; COMPUTE_PGM_RSRC2:TRAP_HANDLER: 0
; COMPUTE_PGM_RSRC2:TGID_X_EN: 1
; COMPUTE_PGM_RSRC2:TGID_Y_EN: 0
; COMPUTE_PGM_RSRC2:TGID_Z_EN: 0
; COMPUTE_PGM_RSRC2:TIDIG_COMP_CNT: 0
	.text
	.p2alignl 6, 3214868480
	.fill 48, 4, 3214868480
	.type	__hip_cuid_484c5c8ecc151192,@object ; @__hip_cuid_484c5c8ecc151192
	.section	.bss,"aw",@nobits
	.globl	__hip_cuid_484c5c8ecc151192
__hip_cuid_484c5c8ecc151192:
	.byte	0                               ; 0x0
	.size	__hip_cuid_484c5c8ecc151192, 1

	.ident	"AMD clang version 19.0.0git (https://github.com/RadeonOpenCompute/llvm-project roc-6.4.0 25133 c7fe45cf4b819c5991fe208aaa96edf142730f1d)"
	.section	".note.GNU-stack","",@progbits
	.addrsig
	.addrsig_sym __hip_cuid_484c5c8ecc151192
	.amdgpu_metadata
---
amdhsa.kernels:
  - .args:
      - .actual_access:  read_only
        .address_space:  global
        .offset:         0
        .size:           8
        .value_kind:     global_buffer
      - .offset:         8
        .size:           8
        .value_kind:     by_value
      - .actual_access:  read_only
        .address_space:  global
        .offset:         16
        .size:           8
        .value_kind:     global_buffer
      - .actual_access:  read_only
        .address_space:  global
        .offset:         24
        .size:           8
        .value_kind:     global_buffer
      - .actual_access:  read_only
        .address_space:  global
        .offset:         32
        .size:           8
        .value_kind:     global_buffer
      - .offset:         40
        .size:           8
        .value_kind:     by_value
      - .actual_access:  read_only
        .address_space:  global
        .offset:         48
        .size:           8
        .value_kind:     global_buffer
      - .actual_access:  read_only
        .address_space:  global
        .offset:         56
        .size:           8
        .value_kind:     global_buffer
      - .offset:         64
        .size:           4
        .value_kind:     by_value
      - .actual_access:  read_only
        .address_space:  global
        .offset:         72
        .size:           8
        .value_kind:     global_buffer
      - .actual_access:  read_only
        .address_space:  global
        .offset:         80
        .size:           8
        .value_kind:     global_buffer
      - .actual_access:  read_only
        .address_space:  global
        .offset:         88
        .size:           8
        .value_kind:     global_buffer
      - .actual_access:  write_only
        .address_space:  global
        .offset:         96
        .size:           8
        .value_kind:     global_buffer
    .group_segment_fixed_size: 0
    .kernarg_segment_align: 8
    .kernarg_segment_size: 104
    .language:       OpenCL C
    .language_version:
      - 2
      - 0
    .max_flat_workgroup_size: 60
    .name:           fft_rtc_fwd_len150_factors_10_5_3_wgs_60_tpt_5_halfLds_sp_op_CI_CI_unitstride_sbrr_C2R_dirReg
    .private_segment_fixed_size: 0
    .sgpr_count:     29
    .sgpr_spill_count: 0
    .symbol:         fft_rtc_fwd_len150_factors_10_5_3_wgs_60_tpt_5_halfLds_sp_op_CI_CI_unitstride_sbrr_C2R_dirReg.kd
    .uniform_work_group_size: 1
    .uses_dynamic_stack: false
    .vgpr_count:     153
    .vgpr_spill_count: 0
    .wavefront_size: 32
    .workgroup_processor_mode: 1
amdhsa.target:   amdgcn-amd-amdhsa--gfx1030
amdhsa.version:
  - 1
  - 2
...

	.end_amdgpu_metadata
